;; amdgpu-corpus repo=zjin-lcf/HeCBench kind=compiled arch=gfx1030 opt=O3
	.amdgcn_target "amdgcn-amd-amdhsa--gfx1030"
	.amdhsa_code_object_version 6
	.text
	.protected	_Z15accuracy_kerneliiiPKfPKiPi ; -- Begin function _Z15accuracy_kerneliiiPKfPKiPi
	.globl	_Z15accuracy_kerneliiiPKfPKiPi
	.p2align	8
	.type	_Z15accuracy_kerneliiiPKfPKiPi,@function
_Z15accuracy_kerneliiiPKfPKiPi:         ; @_Z15accuracy_kerneliiiPKfPKiPi
; %bb.0:
	s_load_dwordx4 s[8:11], s[4:5], 0x0
	v_mov_b32_e32 v1, 0
	s_waitcnt lgkmcnt(0)
	s_cmp_ge_i32 s6, s8
	s_cbranch_scc1 .LBB0_15
; %bb.1:
	v_mbcnt_lo_u32_b32 v7, -1, 0
	s_clause 0x1
	s_load_dwordx4 s[12:15], s[4:5], 0x10
	s_load_dword s11, s[4:5], 0x28
	v_lshrrev_b32_e32 v3, 3, v0
	v_mov_b32_e32 v1, 0
	v_mov_b32_e32 v2, 0x7c
	v_and_b32_e32 v4, 7, v7
	v_cmp_eq_u32_e64 s0, 0, v7
	v_and_b32_e32 v3, 0x7c, v3
	s_add_u32 s16, s4, 40
	s_addc_u32 s17, s5, 0
	v_cmp_ne_u32_e64 s1, 7, v4
	s_mul_i32 s18, s6, s9
	v_cmp_gt_i32_e32 vcc_lo, s9, v0
	v_add_co_ci_u32_e64 v5, null, 0, v7, s1
	v_cmp_gt_u32_e64 s1, 6, v4
	v_lshlrev_b32_e32 v4, 2, v4
	v_lshlrev_b32_e32 v5, 2, v5
	s_waitcnt lgkmcnt(0)
	s_mul_i32 s19, s11, s9
	v_cndmask_b32_e64 v6, 0, 2, s1
	v_cmp_gt_u32_e64 s1, 32, v0
	v_add_lshl_u32 v6, v6, v7, 2
	v_lshl_or_b32 v7, v7, 2, 16
	s_branch .LBB0_3
.LBB0_2:                                ;   in Loop: Header=BB0_3 Depth=1
	s_or_b32 exec_lo, exec_lo, s2
	v_cmp_ge_i32_e64 s2, s10, v8
	s_add_i32 s6, s11, s6
	s_add_i32 s18, s18, s19
	s_cmp_ge_i32 s6, s8
	v_add_co_ci_u32_e64 v1, null, 0, v1, s2
	s_barrier
	buffer_gl0_inv
	s_cbranch_scc1 .LBB0_15
.LBB0_3:                                ; =>This Loop Header: Depth=1
                                        ;     Child Loop BB0_6 Depth 2
	v_mov_b32_e32 v8, 0
	s_and_saveexec_b32 s20, vcc_lo
	s_cbranch_execz .LBB0_11
; %bb.4:                                ;   in Loop: Header=BB0_3 Depth=1
	s_ashr_i32 s7, s6, 31
	s_load_dword s22, s[16:17], 0xc
	s_lshl_b64 s[2:3], s[6:7], 2
	v_mov_b32_e32 v8, 0
	s_add_u32 s2, s14, s2
	s_addc_u32 s3, s15, s3
	v_mov_b32_e32 v9, v0
	s_load_dword s7, s[2:3], 0x0
	s_mul_i32 s2, s6, s9
	s_waitcnt lgkmcnt(0)
	s_add_i32 s2, s7, s2
	s_ashr_i32 s3, s2, 31
	s_lshl_b64 s[2:3], s[2:3], 2
	s_add_u32 s2, s12, s2
	s_addc_u32 s3, s13, s3
	s_and_b32 s23, s22, 0xffff
	s_load_dword s21, s[2:3], 0x0
	s_mov_b32 s22, 0
	s_inst_prefetch 0x1
	s_branch .LBB0_6
	.p2align	6
.LBB0_5:                                ;   in Loop: Header=BB0_6 Depth=2
	s_or_b32 exec_lo, exec_lo, s2
	v_add_nc_u32_e32 v9, s23, v9
	v_cmp_le_i32_e64 s2, s9, v9
	s_or_b32 s22, s2, s22
	s_andn2_b32 exec_lo, exec_lo, s22
	s_cbranch_execz .LBB0_10
.LBB0_6:                                ;   Parent Loop BB0_3 Depth=1
                                        ; =>  This Inner Loop Header: Depth=2
	v_add_nc_u32_e32 v10, s18, v9
	s_mov_b32 s25, exec_lo
	v_ashrrev_i32_e32 v11, 31, v10
	v_lshlrev_b64 v[10:11], 2, v[10:11]
	v_add_co_u32 v10, s2, s12, v10
	v_add_co_ci_u32_e64 v11, null, s13, v11, s2
	global_load_dword v10, v[10:11], off
	s_waitcnt vmcnt(0) lgkmcnt(0)
	v_cmp_lt_f32_e64 s24, s21, v10
	v_cmpx_nlt_f32_e32 s21, v10
; %bb.7:                                ;   in Loop: Header=BB0_6 Depth=2
	v_cmp_eq_f32_e64 s2, s21, v10
	v_cmp_ge_i32_e64 s3, s7, v9
	s_and_b32 s2, s3, s2
	s_andn2_b32 s3, s24, exec_lo
	s_and_b32 s2, s2, exec_lo
	s_or_b32 s24, s3, s2
; %bb.8:                                ;   in Loop: Header=BB0_6 Depth=2
	s_or_b32 exec_lo, exec_lo, s25
	s_and_saveexec_b32 s2, s24
	s_cbranch_execz .LBB0_5
; %bb.9:                                ;   in Loop: Header=BB0_6 Depth=2
	v_add_nc_u32_e32 v8, 1, v8
	s_branch .LBB0_5
.LBB0_10:                               ;   in Loop: Header=BB0_3 Depth=1
	s_inst_prefetch 0x2
	s_or_b32 exec_lo, exec_lo, s22
.LBB0_11:                               ;   in Loop: Header=BB0_3 Depth=1
	s_or_b32 exec_lo, exec_lo, s20
	v_mov_b32_dpp v9, v8 quad_perm:[1,0,3,2] row_mask:0xf bank_mask:0xf
	v_add_nc_u32_e32 v8, v9, v8
	v_mov_b32_dpp v9, v8 quad_perm:[2,3,0,1] row_mask:0xf bank_mask:0xf
	v_add_nc_u32_e32 v8, v8, v9
	v_mov_b32_dpp v9, v8 row_ror:4 row_mask:0xf bank_mask:0xf
	v_add_nc_u32_e32 v8, v8, v9
	v_mov_b32_dpp v9, v8 row_ror:8 row_mask:0xf bank_mask:0xf
	v_add_nc_u32_e32 v8, v8, v9
	ds_swizzle_b32 v9, v8 offset:swizzle(BROADCAST,32,15)
	s_waitcnt lgkmcnt(0)
	v_add_nc_u32_e32 v8, v8, v9
	ds_bpermute_b32 v8, v2, v8
	s_and_saveexec_b32 s2, s0
	s_cbranch_execz .LBB0_13
; %bb.12:                               ;   in Loop: Header=BB0_3 Depth=1
	s_waitcnt lgkmcnt(0)
	ds_write_b32 v3, v8
.LBB0_13:                               ;   in Loop: Header=BB0_3 Depth=1
	s_or_b32 exec_lo, exec_lo, s2
	s_waitcnt lgkmcnt(0)
	s_barrier
	buffer_gl0_inv
	s_and_saveexec_b32 s2, s1
	s_cbranch_execz .LBB0_2
; %bb.14:                               ;   in Loop: Header=BB0_3 Depth=1
	ds_read_b32 v8, v4
	s_waitcnt lgkmcnt(0)
	ds_bpermute_b32 v9, v5, v8
	s_waitcnt lgkmcnt(0)
	v_add_nc_u32_e32 v8, v9, v8
	ds_bpermute_b32 v9, v6, v8
	s_waitcnt lgkmcnt(0)
	v_add_nc_u32_e32 v8, v9, v8
	;; [unrolled: 3-line block ×3, first 2 shown]
	s_branch .LBB0_2
.LBB0_15:
	s_mov_b32 s0, 0
	s_mov_b32 s1, exec_lo
	v_cmpx_eq_u32_e32 0, v0
	s_cbranch_execz .LBB0_20
; %bb.16:
	s_mov_b32 s1, exec_lo
.LBB0_17:                               ; =>This Inner Loop Header: Depth=1
	s_ff1_i32_b32 s2, s1
	v_readlane_b32 s3, v1, s2
	s_lshl_b32 s2, 1, s2
	s_andn2_b32 s1, s1, s2
	s_add_i32 s0, s0, s3
	s_cmp_lg_u32 s1, 0
	s_cbranch_scc1 .LBB0_17
; %bb.18:
	v_mbcnt_lo_u32_b32 v0, exec_lo, 0
	s_mov_b32 s1, exec_lo
	v_cmpx_eq_u32_e32 0, v0
	s_xor_b32 s1, exec_lo, s1
	s_cbranch_execz .LBB0_20
; %bb.19:
	s_load_dwordx2 s[2:3], s[4:5], 0x20
	v_mov_b32_e32 v0, 0
	v_mov_b32_e32 v1, s0
	s_waitcnt lgkmcnt(0)
	global_atomic_add v0, v1, s[2:3]
.LBB0_20:
	s_endpgm
	.section	.rodata,"a",@progbits
	.p2align	6, 0x0
	.amdhsa_kernel _Z15accuracy_kerneliiiPKfPKiPi
		.amdhsa_group_segment_fixed_size 32
		.amdhsa_private_segment_fixed_size 0
		.amdhsa_kernarg_size 296
		.amdhsa_user_sgpr_count 6
		.amdhsa_user_sgpr_private_segment_buffer 1
		.amdhsa_user_sgpr_dispatch_ptr 0
		.amdhsa_user_sgpr_queue_ptr 0
		.amdhsa_user_sgpr_kernarg_segment_ptr 1
		.amdhsa_user_sgpr_dispatch_id 0
		.amdhsa_user_sgpr_flat_scratch_init 0
		.amdhsa_user_sgpr_private_segment_size 0
		.amdhsa_wavefront_size32 1
		.amdhsa_uses_dynamic_stack 0
		.amdhsa_system_sgpr_private_segment_wavefront_offset 0
		.amdhsa_system_sgpr_workgroup_id_x 1
		.amdhsa_system_sgpr_workgroup_id_y 0
		.amdhsa_system_sgpr_workgroup_id_z 0
		.amdhsa_system_sgpr_workgroup_info 0
		.amdhsa_system_vgpr_workitem_id 0
		.amdhsa_next_free_vgpr 12
		.amdhsa_next_free_sgpr 26
		.amdhsa_reserve_vcc 1
		.amdhsa_reserve_flat_scratch 0
		.amdhsa_float_round_mode_32 0
		.amdhsa_float_round_mode_16_64 0
		.amdhsa_float_denorm_mode_32 3
		.amdhsa_float_denorm_mode_16_64 3
		.amdhsa_dx10_clamp 1
		.amdhsa_ieee_mode 1
		.amdhsa_fp16_overflow 0
		.amdhsa_workgroup_processor_mode 1
		.amdhsa_memory_ordered 1
		.amdhsa_forward_progress 1
		.amdhsa_shared_vgpr_count 0
		.amdhsa_exception_fp_ieee_invalid_op 0
		.amdhsa_exception_fp_denorm_src 0
		.amdhsa_exception_fp_ieee_div_zero 0
		.amdhsa_exception_fp_ieee_overflow 0
		.amdhsa_exception_fp_ieee_underflow 0
		.amdhsa_exception_fp_ieee_inexact 0
		.amdhsa_exception_int_div_zero 0
	.end_amdhsa_kernel
	.text
.Lfunc_end0:
	.size	_Z15accuracy_kerneliiiPKfPKiPi, .Lfunc_end0-_Z15accuracy_kerneliiiPKfPKiPi
                                        ; -- End function
	.set _Z15accuracy_kerneliiiPKfPKiPi.num_vgpr, 12
	.set _Z15accuracy_kerneliiiPKfPKiPi.num_agpr, 0
	.set _Z15accuracy_kerneliiiPKfPKiPi.numbered_sgpr, 26
	.set _Z15accuracy_kerneliiiPKfPKiPi.num_named_barrier, 0
	.set _Z15accuracy_kerneliiiPKfPKiPi.private_seg_size, 0
	.set _Z15accuracy_kerneliiiPKfPKiPi.uses_vcc, 1
	.set _Z15accuracy_kerneliiiPKfPKiPi.uses_flat_scratch, 0
	.set _Z15accuracy_kerneliiiPKfPKiPi.has_dyn_sized_stack, 0
	.set _Z15accuracy_kerneliiiPKfPKiPi.has_recursion, 0
	.set _Z15accuracy_kerneliiiPKfPKiPi.has_indirect_call, 0
	.section	.AMDGPU.csdata,"",@progbits
; Kernel info:
; codeLenInByte = 828
; TotalNumSgprs: 28
; NumVgprs: 12
; ScratchSize: 0
; MemoryBound: 0
; FloatMode: 240
; IeeeMode: 1
; LDSByteSize: 32 bytes/workgroup (compile time only)
; SGPRBlocks: 0
; VGPRBlocks: 1
; NumSGPRsForWavesPerEU: 28
; NumVGPRsForWavesPerEU: 12
; Occupancy: 16
; WaveLimiterHint : 1
; COMPUTE_PGM_RSRC2:SCRATCH_EN: 0
; COMPUTE_PGM_RSRC2:USER_SGPR: 6
; COMPUTE_PGM_RSRC2:TRAP_HANDLER: 0
; COMPUTE_PGM_RSRC2:TGID_X_EN: 1
; COMPUTE_PGM_RSRC2:TGID_Y_EN: 0
; COMPUTE_PGM_RSRC2:TGID_Z_EN: 0
; COMPUTE_PGM_RSRC2:TIDIG_COMP_CNT: 0
	.text
	.protected	_Z16accuracy_kernel2iiiPKfPKiPi ; -- Begin function _Z16accuracy_kernel2iiiPKfPKiPi
	.globl	_Z16accuracy_kernel2iiiPKfPKiPi
	.p2align	8
	.type	_Z16accuracy_kernel2iiiPKfPKiPi,@function
_Z16accuracy_kernel2iiiPKfPKiPi:        ; @_Z16accuracy_kernel2iiiPKfPKiPi
; %bb.0:
	s_load_dwordx4 s[12:15], s[4:5], 0x0
	v_mov_b32_e32 v11, 0
	v_cmp_eq_u32_e32 vcc_lo, 0, v0
	s_waitcnt lgkmcnt(0)
	s_cmp_ge_i32 s6, s12
	s_cbranch_scc1 .LBB1_29
; %bb.1:
	s_clause 0x2
	s_load_dword s3, s[4:5], 0x34
	s_load_dwordx4 s[16:19], s[4:5], 0x10
	s_load_dword s10, s[4:5], 0x28
	v_mbcnt_lo_u32_b32 v1, -1, 0
	v_lshrrev_b32_e32 v3, 3, v0
	v_mov_b32_e32 v2, 0
	v_cmp_ne_u32_e64 s0, 0, v0
	v_mov_b32_e32 v12, 0x7c
	v_and_b32_e32 v4, 7, v1
	v_and_b32_e32 v13, 0x7c, v3
	v_cmp_gt_u32_e64 s1, 32, v0
	v_cmp_eq_u32_e64 s2, 0, v1
	v_lshl_or_b32 v14, v1, 2, 16
	v_lshlrev_b32_e32 v15, 2, v4
	v_mov_b32_e32 v11, 0
	s_waitcnt lgkmcnt(0)
	s_and_b32 s11, s3, 0xffff
	v_cmp_ne_u32_e64 s3, 7, v4
	s_mul_i32 s15, s11, 3
	s_lshl_b32 s20, s11, 1
	v_add_nc_u32_e32 v6, s15, v0
	v_add_co_ci_u32_e64 v3, null, 0, v1, s3
	v_cmp_gt_u32_e64 s3, 6, v4
	v_lshlrev_b32_e32 v16, 2, v3
	v_cndmask_b32_e64 v5, 0, 2, s3
	v_cmp_gt_u32_e64 s3, s13, v6
	v_add_lshl_u32 v17, v5, v1, 2
	s_branch .LBB1_3
.LBB1_2:                                ;   in Loop: Header=BB1_3 Depth=1
	s_or_b32 exec_lo, exec_lo, s7
	v_cmp_ge_i32_e64 s7, s14, v1
	s_add_i32 s6, s10, s6
	s_barrier
	buffer_gl0_inv
	s_and_b32 s7, vcc_lo, s7
	s_cmp_ge_i32 s6, s12
	v_cndmask_b32_e64 v1, 0, 1, s7
	v_add_nc_u32_e32 v11, v11, v1
	s_cbranch_scc1 .LBB1_29
.LBB1_3:                                ; =>This Loop Header: Depth=1
                                        ;     Child Loop BB1_9 Depth 2
                                        ;     Child Loop BB1_23 Depth 2
	s_mul_i32 s8, s6, s13
	s_and_saveexec_b32 s7, s0
	s_xor_b32 s7, exec_lo, s7
	s_or_saveexec_b32 s9, s7
	v_mov_b32_e32 v5, s8
	s_xor_b32 exec_lo, exec_lo, s9
	s_cbranch_execz .LBB1_5
; %bb.4:                                ;   in Loop: Header=BB1_3 Depth=1
	s_ashr_i32 s7, s6, 31
	v_mov_b32_e32 v5, s8
	s_lshl_b64 s[22:23], s[6:7], 2
	s_add_u32 s22, s18, s22
	s_addc_u32 s23, s19, s23
	s_load_dword s7, s[22:23], 0x0
	s_waitcnt lgkmcnt(0)
	s_add_i32 s22, s7, s8
	v_mov_b32_e32 v4, s7
	s_ashr_i32 s23, s22, 31
	s_lshl_b64 s[22:23], s[22:23], 2
	s_add_u32 s22, s16, s22
	s_addc_u32 s23, s17, s23
	s_load_dword s21, s[22:23], 0x0
	s_waitcnt lgkmcnt(0)
	v_mov_b32_e32 v3, s21
	ds_write_b64 v2, v[3:4] offset:32
.LBB1_5:                                ;   in Loop: Header=BB1_3 Depth=1
	s_or_b32 exec_lo, exec_lo, s9
	v_mov_b32_e32 v18, 0
	s_waitcnt lgkmcnt(0)
	s_barrier
	buffer_gl0_inv
	v_ashrrev_i32_e32 v6, 31, v5
	ds_read_b64 v[3:4], v18 offset:32
	v_lshlrev_b64 v[5:6], 2, v[5:6]
	v_add_co_u32 v19, s7, s16, v5
	v_add_co_ci_u32_e64 v20, null, s17, v6, s7
	v_mov_b32_e32 v5, v0
	s_and_saveexec_b32 s21, s3
	s_cbranch_execz .LBB1_21
; %bb.6:                                ;   in Loop: Header=BB1_3 Depth=1
	v_mov_b32_e32 v18, 0
	v_mov_b32_e32 v5, v0
	s_mov_b32 s22, 0
	s_branch .LBB1_9
.LBB1_7:                                ;   in Loop: Header=BB1_9 Depth=2
	s_or_b32 exec_lo, exec_lo, s9
.LBB1_8:                                ;   in Loop: Header=BB1_9 Depth=2
	s_or_b32 exec_lo, exec_lo, s8
	v_cmp_eq_f32_e64 s7, v6, v3
	v_cmp_le_i32_e64 s8, v5, v4
	v_add3_u32 v5, s20, s11, v1
	v_cmp_gt_f32_e64 s9, v6, v3
	s_and_b32 s7, s7, s8
	v_add_nc_u32_e32 v1, s15, v5
	s_or_b32 s7, s9, s7
	v_add_co_ci_u32_e64 v6, null, v10, v18, s7
	v_cmp_le_u32_e64 s7, s13, v1
	v_add3_u32 v18, v6, v8, v9
	s_or_b32 s22, s7, s22
	s_andn2_b32 exec_lo, exec_lo, s22
	s_cbranch_execz .LBB1_20
.LBB1_9:                                ;   Parent Loop BB1_3 Depth=1
                                        ; =>  This Inner Loop Header: Depth=2
	v_add_nc_u32_e32 v1, s11, v5
	v_ashrrev_i32_e32 v6, 31, v5
	v_add_nc_u32_e32 v9, s20, v5
	v_mov_b32_e32 v10, v2
	v_add_nc_u32_e32 v7, s15, v5
	v_lshlrev_b64 v[21:22], 2, v[1:2]
	v_lshlrev_b64 v[23:24], 2, v[5:6]
	v_mov_b32_e32 v8, v2
	v_lshlrev_b64 v[25:26], 2, v[9:10]
	v_mov_b32_e32 v10, 1
	s_mov_b32 s8, exec_lo
	v_add_co_u32 v21, s7, v19, v21
	v_add_co_ci_u32_e64 v22, null, v20, v22, s7
	v_add_co_u32 v27, s7, v19, v23
	v_add_co_ci_u32_e64 v28, null, v20, v24, s7
	global_load_dword v23, v[21:22], off
	v_lshlrev_b64 v[21:22], 2, v[7:8]
	v_add_co_u32 v24, s7, v19, v25
	v_add_co_ci_u32_e64 v25, null, v20, v26, s7
	v_mov_b32_e32 v8, 1
	v_add_co_u32 v29, s7, v19, v21
	v_add_co_ci_u32_e64 v30, null, v20, v22, s7
	s_clause 0x2
	global_load_dword v6, v[27:28], off
	global_load_dword v22, v[24:25], off
	;; [unrolled: 1-line block ×3, first 2 shown]
	s_waitcnt vmcnt(3) lgkmcnt(0)
	v_cmpx_ngt_f32_e32 v23, v3
	s_cbranch_execz .LBB1_13
; %bb.10:                               ;   in Loop: Header=BB1_9 Depth=2
	v_mov_b32_e32 v10, 0
	s_mov_b32 s9, exec_lo
	v_cmpx_eq_f32_e32 v23, v3
; %bb.11:                               ;   in Loop: Header=BB1_9 Depth=2
	v_cmp_le_u32_e64 s7, v1, v4
	v_cndmask_b32_e64 v10, 0, 1, s7
; %bb.12:                               ;   in Loop: Header=BB1_9 Depth=2
	s_or_b32 exec_lo, exec_lo, s9
.LBB1_13:                               ;   in Loop: Header=BB1_9 Depth=2
	s_or_b32 exec_lo, exec_lo, s8
	s_mov_b32 s8, exec_lo
	s_waitcnt vmcnt(1)
	v_cmpx_ngt_f32_e32 v22, v3
	s_cbranch_execz .LBB1_17
; %bb.14:                               ;   in Loop: Header=BB1_9 Depth=2
	v_mov_b32_e32 v8, 0
	s_mov_b32 s9, exec_lo
	v_cmpx_eq_f32_e32 v22, v3
; %bb.15:                               ;   in Loop: Header=BB1_9 Depth=2
	v_cmp_le_u32_e64 s7, v9, v4
	v_cndmask_b32_e64 v8, 0, 1, s7
; %bb.16:                               ;   in Loop: Header=BB1_9 Depth=2
	s_or_b32 exec_lo, exec_lo, s9
.LBB1_17:                               ;   in Loop: Header=BB1_9 Depth=2
	s_or_b32 exec_lo, exec_lo, s8
	v_mov_b32_e32 v9, 1
	s_mov_b32 s8, exec_lo
	s_waitcnt vmcnt(0)
	v_cmpx_ngt_f32_e32 v21, v3
	s_cbranch_execz .LBB1_8
; %bb.18:                               ;   in Loop: Header=BB1_9 Depth=2
	v_mov_b32_e32 v9, 0
	s_mov_b32 s9, exec_lo
	v_cmpx_eq_f32_e32 v21, v3
	s_cbranch_execz .LBB1_7
; %bb.19:                               ;   in Loop: Header=BB1_9 Depth=2
	v_cmp_le_u32_e64 s7, v7, v4
	v_cndmask_b32_e64 v9, 0, 1, s7
	s_branch .LBB1_7
.LBB1_20:                               ;   in Loop: Header=BB1_3 Depth=1
	s_or_b32 exec_lo, exec_lo, s22
.LBB1_21:                               ;   in Loop: Header=BB1_3 Depth=1
	s_or_b32 exec_lo, exec_lo, s21
	s_mov_b32 s21, exec_lo
	v_cmpx_gt_i32_e64 s13, v5
	s_cbranch_execz .LBB1_25
; %bb.22:                               ;   in Loop: Header=BB1_3 Depth=1
	s_mov_b32 s22, 0
	.p2align	6
.LBB1_23:                               ;   Parent Loop BB1_3 Depth=1
                                        ; =>  This Inner Loop Header: Depth=2
	v_ashrrev_i32_e32 v6, 31, v5
	v_lshlrev_b64 v[6:7], 2, v[5:6]
	v_add_co_u32 v6, s7, v19, v6
	v_add_co_ci_u32_e64 v7, null, v20, v7, s7
	s_waitcnt lgkmcnt(0)
	v_cmp_le_i32_e64 s7, v5, v4
	v_add_nc_u32_e32 v5, s11, v5
	global_load_dword v1, v[6:7], off
	s_waitcnt vmcnt(0)
	v_cmp_eq_f32_e64 s8, v1, v3
	v_cmp_gt_f32_e64 s9, v1, v3
	s_and_b32 s8, s8, s7
	v_cmp_le_i32_e64 s7, s13, v5
	s_or_b32 s8, s9, s8
	v_add_co_ci_u32_e64 v18, null, 0, v18, s8
	s_or_b32 s22, s7, s22
	s_andn2_b32 exec_lo, exec_lo, s22
	s_cbranch_execnz .LBB1_23
; %bb.24:                               ;   in Loop: Header=BB1_3 Depth=1
	s_or_b32 exec_lo, exec_lo, s22
.LBB1_25:                               ;   in Loop: Header=BB1_3 Depth=1
	s_or_b32 exec_lo, exec_lo, s21
	v_mov_b32_dpp v1, v18 quad_perm:[1,0,3,2] row_mask:0xf bank_mask:0xf
	v_add_nc_u32_e32 v1, v1, v18
	s_waitcnt lgkmcnt(0)
	v_mov_b32_dpp v3, v1 quad_perm:[2,3,0,1] row_mask:0xf bank_mask:0xf
	v_add_nc_u32_e32 v1, v1, v3
	v_mov_b32_dpp v3, v1 row_ror:4 row_mask:0xf bank_mask:0xf
	v_add_nc_u32_e32 v1, v1, v3
	v_mov_b32_dpp v3, v1 row_ror:8 row_mask:0xf bank_mask:0xf
	v_add_nc_u32_e32 v1, v1, v3
	ds_swizzle_b32 v3, v1 offset:swizzle(BROADCAST,32,15)
	s_waitcnt lgkmcnt(0)
	v_add_nc_u32_e32 v1, v1, v3
	ds_bpermute_b32 v1, v12, v1
	s_and_saveexec_b32 s7, s2
	s_cbranch_execz .LBB1_27
; %bb.26:                               ;   in Loop: Header=BB1_3 Depth=1
	s_waitcnt lgkmcnt(0)
	ds_write_b32 v13, v1
.LBB1_27:                               ;   in Loop: Header=BB1_3 Depth=1
	s_or_b32 exec_lo, exec_lo, s7
	s_waitcnt lgkmcnt(0)
	s_barrier
	buffer_gl0_inv
	s_and_saveexec_b32 s7, s1
	s_cbranch_execz .LBB1_2
; %bb.28:                               ;   in Loop: Header=BB1_3 Depth=1
	ds_read_b32 v1, v15
	s_waitcnt lgkmcnt(0)
	ds_bpermute_b32 v3, v16, v1
	s_waitcnt lgkmcnt(0)
	v_add_nc_u32_e32 v1, v3, v1
	ds_bpermute_b32 v3, v17, v1
	s_waitcnt lgkmcnt(0)
	v_add_nc_u32_e32 v1, v3, v1
	;; [unrolled: 3-line block ×3, first 2 shown]
	s_branch .LBB1_2
.LBB1_29:
	v_cmp_eq_u32_e32 vcc_lo, 0, v0
	v_cmp_ne_u32_e64 s0, 0, v11
	s_mov_b32 s1, 0
	s_and_b32 s0, vcc_lo, s0
	s_and_saveexec_b32 s2, s0
	s_cbranch_execz .LBB1_34
; %bb.30:
	s_mov_b32 s0, exec_lo
.LBB1_31:                               ; =>This Inner Loop Header: Depth=1
	s_ff1_i32_b32 s2, s0
	v_readlane_b32 s3, v11, s2
	s_lshl_b32 s2, 1, s2
	s_andn2_b32 s0, s0, s2
	s_add_i32 s1, s1, s3
	s_cmp_lg_u32 s0, 0
	s_cbranch_scc1 .LBB1_31
; %bb.32:
	v_mbcnt_lo_u32_b32 v0, exec_lo, 0
	s_mov_b32 s0, exec_lo
	v_cmpx_eq_u32_e32 0, v0
	s_xor_b32 s0, exec_lo, s0
	s_cbranch_execz .LBB1_34
; %bb.33:
	s_load_dwordx2 s[2:3], s[4:5], 0x20
	v_mov_b32_e32 v0, 0
	v_mov_b32_e32 v1, s1
	s_waitcnt lgkmcnt(0)
	global_atomic_add v0, v1, s[2:3]
.LBB1_34:
	s_endpgm
	.section	.rodata,"a",@progbits
	.p2align	6, 0x0
	.amdhsa_kernel _Z16accuracy_kernel2iiiPKfPKiPi
		.amdhsa_group_segment_fixed_size 40
		.amdhsa_private_segment_fixed_size 0
		.amdhsa_kernarg_size 296
		.amdhsa_user_sgpr_count 6
		.amdhsa_user_sgpr_private_segment_buffer 1
		.amdhsa_user_sgpr_dispatch_ptr 0
		.amdhsa_user_sgpr_queue_ptr 0
		.amdhsa_user_sgpr_kernarg_segment_ptr 1
		.amdhsa_user_sgpr_dispatch_id 0
		.amdhsa_user_sgpr_flat_scratch_init 0
		.amdhsa_user_sgpr_private_segment_size 0
		.amdhsa_wavefront_size32 1
		.amdhsa_uses_dynamic_stack 0
		.amdhsa_system_sgpr_private_segment_wavefront_offset 0
		.amdhsa_system_sgpr_workgroup_id_x 1
		.amdhsa_system_sgpr_workgroup_id_y 0
		.amdhsa_system_sgpr_workgroup_id_z 0
		.amdhsa_system_sgpr_workgroup_info 0
		.amdhsa_system_vgpr_workitem_id 0
		.amdhsa_next_free_vgpr 31
		.amdhsa_next_free_sgpr 24
		.amdhsa_reserve_vcc 1
		.amdhsa_reserve_flat_scratch 0
		.amdhsa_float_round_mode_32 0
		.amdhsa_float_round_mode_16_64 0
		.amdhsa_float_denorm_mode_32 3
		.amdhsa_float_denorm_mode_16_64 3
		.amdhsa_dx10_clamp 1
		.amdhsa_ieee_mode 1
		.amdhsa_fp16_overflow 0
		.amdhsa_workgroup_processor_mode 1
		.amdhsa_memory_ordered 1
		.amdhsa_forward_progress 1
		.amdhsa_shared_vgpr_count 0
		.amdhsa_exception_fp_ieee_invalid_op 0
		.amdhsa_exception_fp_denorm_src 0
		.amdhsa_exception_fp_ieee_div_zero 0
		.amdhsa_exception_fp_ieee_overflow 0
		.amdhsa_exception_fp_ieee_underflow 0
		.amdhsa_exception_fp_ieee_inexact 0
		.amdhsa_exception_int_div_zero 0
	.end_amdhsa_kernel
	.text
.Lfunc_end1:
	.size	_Z16accuracy_kernel2iiiPKfPKiPi, .Lfunc_end1-_Z16accuracy_kernel2iiiPKfPKiPi
                                        ; -- End function
	.set _Z16accuracy_kernel2iiiPKfPKiPi.num_vgpr, 31
	.set _Z16accuracy_kernel2iiiPKfPKiPi.num_agpr, 0
	.set _Z16accuracy_kernel2iiiPKfPKiPi.numbered_sgpr, 24
	.set _Z16accuracy_kernel2iiiPKfPKiPi.num_named_barrier, 0
	.set _Z16accuracy_kernel2iiiPKfPKiPi.private_seg_size, 0
	.set _Z16accuracy_kernel2iiiPKfPKiPi.uses_vcc, 1
	.set _Z16accuracy_kernel2iiiPKfPKiPi.uses_flat_scratch, 0
	.set _Z16accuracy_kernel2iiiPKfPKiPi.has_dyn_sized_stack, 0
	.set _Z16accuracy_kernel2iiiPKfPKiPi.has_recursion, 0
	.set _Z16accuracy_kernel2iiiPKfPKiPi.has_indirect_call, 0
	.section	.AMDGPU.csdata,"",@progbits
; Kernel info:
; codeLenInByte = 1384
; TotalNumSgprs: 26
; NumVgprs: 31
; ScratchSize: 0
; MemoryBound: 0
; FloatMode: 240
; IeeeMode: 1
; LDSByteSize: 40 bytes/workgroup (compile time only)
; SGPRBlocks: 0
; VGPRBlocks: 3
; NumSGPRsForWavesPerEU: 26
; NumVGPRsForWavesPerEU: 31
; Occupancy: 16
; WaveLimiterHint : 1
; COMPUTE_PGM_RSRC2:SCRATCH_EN: 0
; COMPUTE_PGM_RSRC2:USER_SGPR: 6
; COMPUTE_PGM_RSRC2:TRAP_HANDLER: 0
; COMPUTE_PGM_RSRC2:TGID_X_EN: 1
; COMPUTE_PGM_RSRC2:TGID_Y_EN: 0
; COMPUTE_PGM_RSRC2:TGID_Z_EN: 0
; COMPUTE_PGM_RSRC2:TIDIG_COMP_CNT: 0
	.text
	.p2alignl 6, 3214868480
	.fill 48, 4, 3214868480
	.section	.AMDGPU.gpr_maximums,"",@progbits
	.set amdgpu.max_num_vgpr, 0
	.set amdgpu.max_num_agpr, 0
	.set amdgpu.max_num_sgpr, 0
	.text
	.type	__hip_cuid_abc5603e1351a80,@object ; @__hip_cuid_abc5603e1351a80
	.section	.bss,"aw",@nobits
	.globl	__hip_cuid_abc5603e1351a80
__hip_cuid_abc5603e1351a80:
	.byte	0                               ; 0x0
	.size	__hip_cuid_abc5603e1351a80, 1

	.ident	"AMD clang version 22.0.0git (https://github.com/RadeonOpenCompute/llvm-project roc-7.2.4 26084 f58b06dce1f9c15707c5f808fd002e18c2accf7e)"
	.section	".note.GNU-stack","",@progbits
	.addrsig
	.addrsig_sym __hip_cuid_abc5603e1351a80
	.amdgpu_metadata
---
amdhsa.kernels:
  - .args:
      - .offset:         0
        .size:           4
        .value_kind:     by_value
      - .offset:         4
        .size:           4
        .value_kind:     by_value
      - .offset:         8
        .size:           4
        .value_kind:     by_value
      - .actual_access:  read_only
        .address_space:  global
        .offset:         16
        .size:           8
        .value_kind:     global_buffer
      - .actual_access:  read_only
        .address_space:  global
        .offset:         24
        .size:           8
        .value_kind:     global_buffer
      - .address_space:  global
        .offset:         32
        .size:           8
        .value_kind:     global_buffer
      - .offset:         40
        .size:           4
        .value_kind:     hidden_block_count_x
      - .offset:         44
        .size:           4
        .value_kind:     hidden_block_count_y
      - .offset:         48
        .size:           4
        .value_kind:     hidden_block_count_z
      - .offset:         52
        .size:           2
        .value_kind:     hidden_group_size_x
      - .offset:         54
        .size:           2
        .value_kind:     hidden_group_size_y
      - .offset:         56
        .size:           2
        .value_kind:     hidden_group_size_z
      - .offset:         58
        .size:           2
        .value_kind:     hidden_remainder_x
      - .offset:         60
        .size:           2
        .value_kind:     hidden_remainder_y
      - .offset:         62
        .size:           2
        .value_kind:     hidden_remainder_z
      - .offset:         80
        .size:           8
        .value_kind:     hidden_global_offset_x
      - .offset:         88
        .size:           8
        .value_kind:     hidden_global_offset_y
      - .offset:         96
        .size:           8
        .value_kind:     hidden_global_offset_z
      - .offset:         104
        .size:           2
        .value_kind:     hidden_grid_dims
    .group_segment_fixed_size: 32
    .kernarg_segment_align: 8
    .kernarg_segment_size: 296
    .language:       OpenCL C
    .language_version:
      - 2
      - 0
    .max_flat_workgroup_size: 1024
    .name:           _Z15accuracy_kerneliiiPKfPKiPi
    .private_segment_fixed_size: 0
    .sgpr_count:     28
    .sgpr_spill_count: 0
    .symbol:         _Z15accuracy_kerneliiiPKfPKiPi.kd
    .uniform_work_group_size: 1
    .uses_dynamic_stack: false
    .vgpr_count:     12
    .vgpr_spill_count: 0
    .wavefront_size: 32
    .workgroup_processor_mode: 1
  - .args:
      - .offset:         0
        .size:           4
        .value_kind:     by_value
      - .offset:         4
        .size:           4
        .value_kind:     by_value
      - .offset:         8
        .size:           4
        .value_kind:     by_value
      - .actual_access:  read_only
        .address_space:  global
        .offset:         16
        .size:           8
        .value_kind:     global_buffer
      - .actual_access:  read_only
        .address_space:  global
        .offset:         24
        .size:           8
        .value_kind:     global_buffer
      - .address_space:  global
        .offset:         32
        .size:           8
        .value_kind:     global_buffer
      - .offset:         40
        .size:           4
        .value_kind:     hidden_block_count_x
      - .offset:         44
        .size:           4
        .value_kind:     hidden_block_count_y
      - .offset:         48
        .size:           4
        .value_kind:     hidden_block_count_z
      - .offset:         52
        .size:           2
        .value_kind:     hidden_group_size_x
      - .offset:         54
        .size:           2
        .value_kind:     hidden_group_size_y
      - .offset:         56
        .size:           2
        .value_kind:     hidden_group_size_z
      - .offset:         58
        .size:           2
        .value_kind:     hidden_remainder_x
      - .offset:         60
        .size:           2
        .value_kind:     hidden_remainder_y
      - .offset:         62
        .size:           2
        .value_kind:     hidden_remainder_z
      - .offset:         80
        .size:           8
        .value_kind:     hidden_global_offset_x
      - .offset:         88
        .size:           8
        .value_kind:     hidden_global_offset_y
      - .offset:         96
        .size:           8
        .value_kind:     hidden_global_offset_z
      - .offset:         104
        .size:           2
        .value_kind:     hidden_grid_dims
    .group_segment_fixed_size: 40
    .kernarg_segment_align: 8
    .kernarg_segment_size: 296
    .language:       OpenCL C
    .language_version:
      - 2
      - 0
    .max_flat_workgroup_size: 1024
    .name:           _Z16accuracy_kernel2iiiPKfPKiPi
    .private_segment_fixed_size: 0
    .sgpr_count:     26
    .sgpr_spill_count: 0
    .symbol:         _Z16accuracy_kernel2iiiPKfPKiPi.kd
    .uniform_work_group_size: 1
    .uses_dynamic_stack: false
    .vgpr_count:     31
    .vgpr_spill_count: 0
    .wavefront_size: 32
    .workgroup_processor_mode: 1
amdhsa.target:   amdgcn-amd-amdhsa--gfx1030
amdhsa.version:
  - 1
  - 2
...

	.end_amdgpu_metadata
